;; amdgpu-corpus repo=ROCm/rocm-examples kind=compiled arch=gfx90a opt=O3
	.text
	.amdgcn_target "amdgcn-amd-amdhsa--gfx90a"
	.amdhsa_code_object_version 6
	.protected	_Z14gemm_rocwmma_djjjPKDF16_S0_S0_PDF16_jjjjff ; -- Begin function _Z14gemm_rocwmma_djjjPKDF16_S0_S0_PDF16_jjjjff
	.globl	_Z14gemm_rocwmma_djjjPKDF16_S0_S0_PDF16_jjjjff
	.p2align	8
	.type	_Z14gemm_rocwmma_djjjPKDF16_S0_S0_PDF16_jjjjff,@function
_Z14gemm_rocwmma_djjjPKDF16_S0_S0_PDF16_jjjjff: ; @_Z14gemm_rocwmma_djjjPKDF16_S0_S0_PDF16_jjjjff
; %bb.0:
	s_load_dwordx4 s[16:19], s[4:5], 0x0
	v_and_b32_e32 v21, 0x3ff, v0
	v_bfe_u32 v0, v0, 10, 10
	v_and_b32_e32 v5, 0xc0, v21
	v_lshlrev_b32_e32 v6, 6, v0
	s_lshl_b32 s20, s6, 7
	s_lshl_b32 s22, s7, 7
	v_add_u32_e32 v23, s20, v5
	v_add_u32_e32 v20, s22, v6
	;; [unrolled: 1-line block ×4, first 2 shown]
	s_waitcnt lgkmcnt(0)
	v_cmp_ge_u32_e32 vcc, s16, v1
	v_cmp_ge_u32_e64 s[0:1], s17, v2
	s_and_b64 s[0:1], vcc, s[0:1]
	s_and_saveexec_b64 s[2:3], s[0:1]
	s_cbranch_execz .LBB0_6
; %bb.1:
	v_lshrrev_b32_e32 v1, 5, v21
	s_load_dwordx8 s[8:15], s[4:5], 0x10
	s_load_dwordx4 s[0:3], s[4:5], 0x30
	s_load_dwordx2 s[6:7], s[4:5], 0x40
	v_and_b32_e32 v1, 30, v1
	s_mov_b32 s21, 0
	v_add_u32_e32 v7, v1, v0
	v_lshlrev_b32_e32 v0, 3, v21
	s_lshl_b64 s[4:5], s[20:21], 1
	v_and_b32_e32 v4, 0x78, v0
	v_bfe_u32 v0, v21, 4, 2
	s_waitcnt lgkmcnt(0)
	s_add_u32 s16, s8, s4
	v_lshl_or_b32 v12, v7, 2, v0
	s_addc_u32 s17, s9, s5
	v_mad_u64_u32 v[2:3], s[4:5], v12, s0, v[4:5]
	v_mov_b32_e32 v3, 0
	s_mov_b32 s23, s21
	v_lshlrev_b64 v[0:1], 1, v[2:3]
	s_lshl_b64 s[4:5], s[22:23], 1
	v_add_co_u32_e32 v8, vcc, s16, v0
	s_add_u32 s16, s10, s4
	v_mov_b32_e32 v2, s17
	s_addc_u32 s17, s11, s5
	v_mad_u64_u32 v[12:13], s[4:5], v12, s1, v[4:5]
	v_mov_b32_e32 v13, v3
	v_addc_co_u32_e32 v9, vcc, v2, v1, vcc
	v_lshlrev_b64 v[2:3], 1, v[12:13]
	v_mov_b32_e32 v13, s17
	v_add_co_u32_e32 v12, vcc, s16, v2
	global_load_dwordx4 v[8:11], v[8:9], off
	v_addc_co_u32_e32 v13, vcc, v13, v3, vcc
	global_load_dwordx4 v[12:15], v[12:13], off
	v_lshlrev_b32_e32 v16, 4, v21
	v_lshlrev_b32_e32 v17, 2, v21
	;; [unrolled: 1-line block ×3, first 2 shown]
	s_movk_i32 s4, 0xc00
	v_and_b32_e32 v16, 0x300, v16
	v_and_b32_e32 v22, 60, v17
	v_lshlrev_b32_e32 v7, 10, v7
	v_and_or_b32 v17, v18, s4, v22
	v_or3_b32 v4, v7, v16, v4
	v_accvgpr_write_b32 a48, 0
	v_accvgpr_write_b32 a49, 0
	;; [unrolled: 1-line block ×38, first 2 shown]
	v_lshl_add_u32 v7, v4, 1, 0
	s_cmp_lt_u32 s18, 17
	v_accvgpr_write_b32 a10, 0
	v_accvgpr_write_b32 a11, 0
	;; [unrolled: 1-line block ×26, first 2 shown]
	v_lshlrev_b32_e32 v34, 1, v5
	v_lshlrev_b32_e32 v32, 1, v17
	;; [unrolled: 1-line block ×3, first 2 shown]
	s_waitcnt vmcnt(1)
	ds_write_b128 v7, v[8:11]
	s_waitcnt vmcnt(0)
	ds_write_b128 v7, v[12:15] offset:256
	s_waitcnt lgkmcnt(0)
	s_barrier
	s_cbranch_scc1 .LBB0_4
; %bb.2:
	v_mov_b32_e32 v5, s9
	v_add_co_u32_e32 v0, vcc, s8, v0
	v_addc_co_u32_e32 v1, vcc, v5, v1, vcc
	s_lshl_b32 s5, s0, 4
	s_lshl_b32 s16, s1, 4
	v_mov_b32_e32 v5, s11
	v_add_co_u32_e32 v2, vcc, s10, v2
	v_addc_co_u32_e32 v3, vcc, v5, v3, vcc
	s_add_i32 s20, s20, s5
	s_add_i32 s9, 0, 0x2000
	;; [unrolled: 1-line block ×3, first 2 shown]
	s_mov_b32 s8, 16
	v_accvgpr_write_b32 a15, 0
	v_accvgpr_write_b32 a14, 0
	;; [unrolled: 1-line block ×64, first 2 shown]
	s_mov_b32 s10, 0x7060302
	s_mov_b32 s11, 0x5040100
	;; [unrolled: 1-line block ×3, first 2 shown]
.LBB0_3:                                ; =>This Inner Loop Header: Depth=1
	s_mov_b32 s4, s9
	s_mov_b32 s9, s1
	v_add3_u32 v5, s9, v34, v32
	v_add3_u32 v18, s9, v33, v32
	ds_read2st64_b64 v[6:9], v5 offset0:2 offset1:3
	ds_read2st64_b64 v[10:13], v5 offset1:1
	ds_read2_b64 v[14:17], v18 offset0:32 offset1:96
	ds_read2_b64 v[24:27], v18 offset0:160 offset1:224
	s_lshl_b64 s[22:23], s[20:21], 1
	s_waitcnt lgkmcnt(3)
	v_perm_b32 v19, v8, v6, s11
	s_waitcnt lgkmcnt(2)
	v_perm_b32 v18, v12, v10, s11
	s_waitcnt lgkmcnt(1)
	v_perm_b32 v28, v16, v14, s11
	s_waitcnt lgkmcnt(0)
	v_perm_b32 v29, v26, v24, s11
	v_perm_b32 v31, v26, v24, s10
	v_perm_b32 v30, v16, v14, s10
	;; [unrolled: 1-line block ×8, first 2 shown]
	v_mfma_f32_16x16x16f16 a[48:51], v[18:19], v[28:29], a[48:51]
	s_mov_b32 s1, s21
	v_mov_b32_e32 v5, s23
	s_lshl_b64 s[24:25], s[0:1], 1
	s_add_i32 s8, s8, 16
	s_add_i32 s20, s20, s5
	;; [unrolled: 1-line block ×3, first 2 shown]
	s_mov_b32 s1, s4
	v_mfma_f32_16x16x16f16 a[40:43], v[18:19], v[30:31], a[40:43]
	s_cmp_ge_u32 s8, s18
	v_mfma_f32_16x16x16f16 a[36:39], v[18:19], v[36:37], a[36:39]
	v_mfma_f32_16x16x16f16 a[32:35], v[18:19], v[24:25], a[32:35]
	v_perm_b32 v19, v9, v7, s11
	v_perm_b32 v18, v13, v11, s11
	v_mfma_f32_16x16x16f16 a[52:55], v[14:15], v[28:29], a[52:55]
	v_mfma_f32_16x16x16f16 a[24:27], v[14:15], v[30:31], a[24:27]
	;; [unrolled: 1-line block ×4, first 2 shown]
	v_add_co_u32_e32 v14, vcc, s22, v0
	v_addc_co_u32_e32 v15, vcc, v1, v5, vcc
	v_mov_b32_e32 v5, s25
	v_add_co_u32_e32 v26, vcc, s24, v2
	global_load_dwordx4 v[14:17], v[14:15], off
	v_addc_co_u32_e32 v27, vcc, v3, v5, vcc
	v_mfma_f32_16x16x16f16 a[28:31], v[18:19], v[28:29], a[28:31]
	v_lshl_add_u32 v5, v4, 1, s4
	v_mfma_f32_16x16x16f16 a[8:11], v[18:19], v[30:31], a[8:11]
	v_mfma_f32_16x16x16f16 a[44:47], v[18:19], v[36:37], a[44:47]
	;; [unrolled: 1-line block ×3, first 2 shown]
	v_perm_b32 v19, v9, v7, s10
	global_load_dwordx4 v[6:9], v[26:27], off
	v_perm_b32 v18, v13, v11, s10
	s_waitcnt vmcnt(1)
	ds_write_b128 v5, v[14:17]
	s_waitcnt vmcnt(0)
	ds_write_b128 v5, v[6:9] offset:256
	v_mfma_f32_16x16x16f16 a[60:63], v[18:19], v[28:29], a[60:63]
	s_waitcnt lgkmcnt(0)
	s_barrier
	v_mfma_f32_16x16x16f16 a[4:7], v[18:19], v[30:31], a[4:7]
	v_mfma_f32_16x16x16f16 a[0:3], v[18:19], v[36:37], a[0:3]
	;; [unrolled: 1-line block ×3, first 2 shown]
	s_cbranch_scc0 .LBB0_3
	s_branch .LBB0_5
.LBB0_4:
	s_mov_b32 s4, 0
.LBB0_5:
	v_mad_u64_u32 v[24:25], s[0:1], v23, s2, v[20:21]
	v_mov_b32_e32 v25, 0
	v_and_b32_e32 v56, 48, v21
	v_lshlrev_b64 v[26:27], 1, v[24:25]
	v_mad_u64_u32 v[28:29], s[0:1], v56, s2, v[22:23]
	v_mov_b32_e32 v24, s13
	v_add_co_u32_e32 v57, vcc, s12, v26
	v_mov_b32_e32 v29, v25
	v_addc_co_u32_e32 v70, vcc, v24, v27, vcc
	v_lshlrev_b64 v[26:27], 1, v[28:29]
	v_add_co_u32_e32 v26, vcc, v57, v26
	v_add_u32_e32 v24, s2, v28
	v_addc_co_u32_e32 v27, vcc, v70, v27, vcc
	v_lshlrev_b64 v[28:29], 1, v[24:25]
	v_add_co_u32_e32 v44, vcc, v57, v28
	v_add_u32_e32 v24, s2, v24
	;; [unrolled: 4-line block ×3, first 2 shown]
	v_addc_co_u32_e32 v29, vcc, v70, v29, vcc
	v_lshlrev_b64 v[30:31], 1, v[24:25]
	v_add3_u32 v21, s4, v34, v32
	global_load_dwordx2 v[26:27], v[26:27], off
	v_add_co_u32_e32 v30, vcc, v57, v30
	v_add_u32_e32 v24, s2, v24
	ds_read2st64_b64 v[50:53], v21 offset1:1
	ds_read2st64_b64 v[58:61], v21 offset0:2 offset1:3
	v_add3_u32 v21, s4, v33, v32
	v_addc_co_u32_e32 v31, vcc, v70, v31, vcc
	v_lshlrev_b64 v[46:47], 1, v[24:25]
	ds_read2_b64 v[40:43], v21 offset0:32 offset1:96
	ds_read2_b64 v[36:39], v21 offset0:160 offset1:224
	v_add_co_u32_e32 v32, vcc, v57, v46
	v_add_u32_e32 v24, s2, v24
	v_addc_co_u32_e32 v33, vcc, v70, v47, vcc
	v_lshlrev_b64 v[34:35], 1, v[24:25]
	v_add_co_u32_e32 v34, vcc, v57, v34
	v_add_u32_e32 v24, s2, v24
	s_mov_b32 s0, 0x5040100
	s_mov_b32 s1, 0x7060302
	v_addc_co_u32_e32 v35, vcc, v70, v35, vcc
	v_lshlrev_b64 v[46:47], 1, v[24:25]
	s_waitcnt lgkmcnt(0)
	v_perm_b32 v63, v38, v36, s0
	v_perm_b32 v65, v38, v36, s1
	v_add_co_u32_e32 v36, vcc, v57, v46
	v_add_u32_e32 v24, s2, v24
	v_accvgpr_read_b32 v16, a52
	v_perm_b32 v62, v42, v40, s0
	v_perm_b32 v64, v42, v40, s1
	;; [unrolled: 1-line block ×6, first 2 shown]
	v_addc_co_u32_e32 v37, vcc, v70, v47, vcc
	v_lshlrev_b64 v[40:41], 1, v[24:25]
	v_accvgpr_read_b32 v17, a53
	v_accvgpr_read_b32 v18, a54
	;; [unrolled: 1-line block ×7, first 2 shown]
	v_accvgpr_write_b32 a12, v16
	v_add_co_u32_e32 v40, vcc, v57, v40
	v_add_u32_e32 v24, s2, v24
	v_accvgpr_write_b32 a13, v17
	v_accvgpr_write_b32 a14, v18
	;; [unrolled: 1-line block ×3, first 2 shown]
	v_addc_co_u32_e32 v41, vcc, v70, v41, vcc
	v_lshlrev_b64 v[16:17], 1, v[24:25]
	v_add_co_u32_e32 v16, vcc, v57, v16
	v_addc_co_u32_e32 v17, vcc, v70, v17, vcc
	global_load_dwordx2 v[32:33], v[32:33], off
	v_perm_b32 v49, v60, v58, s0
	global_load_dwordx2 v[16:17], v[16:17], off
	v_perm_b32 v48, v52, v50, s0
	v_add_u32_e32 v24, s2, v24
	v_lshlrev_b64 v[42:43], 1, v[24:25]
	v_add_u32_e32 v24, s2, v24
	v_lshlrev_b64 v[46:47], 1, v[24:25]
	v_add_u32_e32 v24, s2, v24
	v_accvgpr_read_b32 v12, a28
	v_accvgpr_read_b32 v13, a29
	;; [unrolled: 1-line block ×8, first 2 shown]
	v_mfma_f32_16x16x16f16 a[56:59], v[48:49], v[62:63], a[48:51]
	v_perm_b32 v55, v60, v58, s1
	v_perm_b32 v54, v52, v50, s1
	;; [unrolled: 1-line block ×4, first 2 shown]
	v_accvgpr_read_b32 v8, a44
	v_accvgpr_read_b32 v9, a45
	;; [unrolled: 1-line block ×3, first 2 shown]
	v_mfma_f32_16x16x16f16 a[52:55], v[48:49], v[64:65], a[40:43]
	v_accvgpr_read_b32 v11, a47
	s_mov_b32 s0, s7
	s_waitcnt vmcnt(2)
	v_cvt_f32_f16_e32 v21, v26
	v_mul_f32_e32 v21, s7, v21
	v_mfma_f32_16x16x16f16 a[40:43], v[48:49], v[66:67], a[36:39]
	v_mfma_f32_16x16x16f16 a[28:31], v[48:49], v[38:39], a[32:35]
	v_lshlrev_b64 v[48:49], 1, v[24:25]
	v_add_u32_e32 v24, s2, v24
	v_lshlrev_b64 v[18:19], 1, v[24:25]
	v_add_co_u32_e32 v18, vcc, v57, v18
	v_addc_co_u32_e32 v19, vcc, v70, v19, vcc
	global_load_dwordx2 v[18:19], v[18:19], off
	v_mfma_f32_16x16x16f16 a[48:51], v[54:55], v[62:63], a[12:15]
	v_add_u32_e32 v24, s2, v24
	s_nop 5
	v_accvgpr_write_b32 a12, v12
	v_accvgpr_write_b32 a13, v13
	;; [unrolled: 1-line block ×4, first 2 shown]
	v_add_co_u32_e32 v12, vcc, v57, v42
	v_mfma_f32_16x16x16f16 a[44:47], v[54:55], v[66:67], a[20:23]
	v_addc_co_u32_e32 v13, vcc, v70, v43, vcc
	v_add_co_u32_e32 v46, vcc, v57, v46
	v_addc_co_u32_e32 v47, vcc, v70, v47, vcc
	v_add_co_u32_e32 v48, vcc, v57, v48
	v_mfma_f32_16x16x16f16 a[20:23], v[68:69], v[64:65], a[8:11]
	v_addc_co_u32_e32 v49, vcc, v70, v49, vcc
	v_lshlrev_b64 v[14:15], 1, v[24:25]
	global_load_dwordx2 v[12:13], v[12:13], off
	v_add_u32_e32 v24, s2, v24
	v_accvgpr_read_b32 v43, a51
	v_accvgpr_read_b32 v42, a50
	s_nop 0
	v_accvgpr_write_b32 a8, v8
	v_accvgpr_write_b32 a9, v9
	;; [unrolled: 1-line block ×4, first 2 shown]
	v_mfma_f32_16x16x16f16 a[36:39], v[54:55], v[38:39], a[16:19]
	v_add_co_u32_e32 v8, vcc, v57, v14
	v_addc_co_u32_e32 v9, vcc, v70, v15, vcc
	global_load_dwordx2 v[8:9], v[8:9], off
	v_lshlrev_b64 v[10:11], 1, v[24:25]
	v_add_co_u32_e32 v50, vcc, v57, v10
	v_mfma_f32_16x16x16f16 a[16:19], v[68:69], v[66:67], a[8:11]
	v_add_u32_e32 v24, s2, v24
	v_accvgpr_read_b32 v10, a46
	v_accvgpr_read_b32 v71, a23
	s_nop 3
	v_accvgpr_write_b32 a11, v7
	v_accvgpr_write_b32 a10, v6
	;; [unrolled: 1-line block ×4, first 2 shown]
	global_load_dwordx2 v[6:7], v[44:45], off
	v_mfma_f32_16x16x16f16 a[32:35], v[54:55], v[64:65], a[24:27]
	v_perm_b32 v55, v61, v59, s1
	v_perm_b32 v54, v53, v51, s1
	v_addc_co_u32_e32 v51, vcc, v70, v11, vcc
	v_lshlrev_b64 v[4:5], 1, v[24:25]
	v_add_co_u32_e32 v52, vcc, v57, v4
	v_mfma_f32_16x16x16f16 a[24:27], v[68:69], v[62:63], a[12:15]
	v_addc_co_u32_e32 v53, vcc, v70, v5, vcc
	v_accvgpr_read_b32 v24, a56
	v_fma_mixlo_f16 v21, v24, s6, v21
	s_nop 1
	v_accvgpr_read_b32 v15, a35
	v_accvgpr_read_b32 v14, a34
	;; [unrolled: 1-line block ×3, first 2 shown]
	v_mfma_f32_16x16x16f16 a[12:15], v[68:69], v[38:39], a[8:11]
	v_accvgpr_read_b32 v4, a38
	v_accvgpr_read_b32 v11, a47
	;; [unrolled: 1-line block ×4, first 2 shown]
	v_mfma_f32_16x16x16f16 a[8:11], v[54:55], v[62:63], a[60:63]
	v_accvgpr_read_b32 v62, a36
	s_nop 4
	v_accvgpr_read_b32 v73, a12
	v_accvgpr_read_b32 v75, a14
	;; [unrolled: 1-line block ×3, first 2 shown]
	v_accvgpr_write_b32 a63, v3
	v_accvgpr_write_b32 a62, v2
	;; [unrolled: 1-line block ×4, first 2 shown]
	global_load_dwordx2 v[0:1], v[28:29], off
	global_load_dwordx2 v[44:45], v[30:31], off
	;; [unrolled: 1-line block ×3, first 2 shown]
	s_nop 0
	global_load_dwordx2 v[34:35], v[36:37], off
	global_load_dwordx2 v[28:29], v[40:41], off
	s_waitcnt vmcnt(10)
	v_cvt_f32_f16_e32 v36, v32
	s_waitcnt vmcnt(9)
	v_cvt_f32_f16_e32 v37, v16
	v_mfma_f32_16x16x16f16 a[60:63], v[54:55], v[38:39], a[60:63]
	global_load_dwordx2 v[38:39], v[46:47], off
	global_load_dwordx2 v[30:31], v[48:49], off
	v_accvgpr_read_b32 v41, a58
	v_accvgpr_read_b32 v40, a57
	v_pk_mul_f32 v[36:37], s[0:1], v[36:37] op_sel_hi:[0,1]
	v_pk_fma_f32 v[36:37], v[40:41], s[6:7], v[36:37] op_sel_hi:[1,0,1]
	global_load_dwordx2 v[40:41], v[50:51], off
	global_load_dwordx2 v[46:47], v[52:53], off
	v_cvt_f16_f32_e32 v24, v36
	s_waitcnt vmcnt(12)
	v_cvt_f32_f16_e32 v36, v18
	v_cvt_f16_f32_e32 v50, v37
	v_cvt_f32_f16_sdwa v37, v16 dst_sel:DWORD dst_unused:UNUSED_PAD src0_sel:WORD_1
	v_pack_b32_f16 v24, v21, v24
	v_accvgpr_read_b32 v21, a59
	v_mul_f32_e32 v36, s7, v36
	v_fma_mixhi_f16 v50, v21, s6, v36
	v_cvt_f32_f16_sdwa v36, v32 dst_sel:DWORD dst_unused:UNUSED_PAD src0_sel:WORD_1
	v_cvt_f32_f16_sdwa v21, v26 dst_sel:DWORD dst_unused:UNUSED_PAD src0_sel:WORD_1
	v_accvgpr_read_b32 v49, a54
	v_accvgpr_read_b32 v48, a53
	v_pk_mul_f32 v[36:37], s[0:1], v[36:37] op_sel_hi:[0,1]
	v_pk_fma_f32 v[36:37], v[48:49], s[6:7], v[36:37] op_sel_hi:[1,0,1]
	v_cvt_f16_f32_e32 v32, v36
	v_accvgpr_read_b32 v26, a52
	v_mul_f32_e32 v16, s7, v21
	v_fma_mixlo_f16 v16, v26, s6, v16
	v_cvt_f16_f32_e32 v51, v37
	v_cvt_f32_f16_e32 v36, v33
	v_cvt_f32_f16_e32 v37, v17
	v_cvt_f32_f16_sdwa v18, v18 dst_sel:DWORD dst_unused:UNUSED_PAD src0_sel:WORD_1
	v_pack_b32_f16 v52, v16, v32
	v_cvt_f32_f16_e32 v16, v27
	v_accvgpr_read_b32 v49, a42
	v_accvgpr_read_b32 v48, a41
	v_pk_mul_f32 v[36:37], s[0:1], v[36:37] op_sel_hi:[0,1]
	v_mfma_f32_16x16x16f16 a[4:7], v[54:55], v[64:65], a[4:7]
	v_mul_f32_e32 v16, s7, v16
	v_pk_fma_f32 v[36:37], v[48:49], s[6:7], v[36:37] op_sel_hi:[1,0,1]
	v_cvt_f16_f32_e32 v21, v36
	v_cvt_f16_f32_e32 v36, v37
	v_cvt_f32_f16_sdwa v17, v17 dst_sel:DWORD dst_unused:UNUSED_PAD src0_sel:WORD_1
	v_accvgpr_read_b32 v26, a29
	v_accvgpr_read_b32 v37, a28
	v_mfma_f32_16x16x16f16 a[0:3], v[54:55], v[66:67], a[0:3]
	v_mul_f32_e32 v54, s7, v18
	v_accvgpr_read_b32 v18, a40
	v_fma_mixlo_f16 v16, v18, s6, v16
	v_cvt_f32_f16_e32 v18, v19
	v_pack_b32_f16 v21, v16, v21
	v_accvgpr_read_b32 v16, a43
	v_accvgpr_read_b32 v64, a37
	v_mul_f32_e32 v18, s7, v18
	v_fma_mixhi_f16 v36, v16, s6, v18
	v_cvt_f32_f16_sdwa v16, v33 dst_sel:DWORD dst_unused:UNUSED_PAD src0_sel:WORD_1
	v_cvt_f32_f16_sdwa v18, v27 dst_sel:DWORD dst_unused:UNUSED_PAD src0_sel:WORD_1
	v_accvgpr_read_b32 v27, a30
	v_accvgpr_read_b32 v79, a5
	v_pk_mul_f32 v[16:17], s[0:1], v[16:17] op_sel_hi:[0,1]
	v_pk_fma_f32 v[16:17], v[26:27], s[6:7], v[16:17] op_sel_hi:[1,0,1]
	v_cvt_f16_f32_e32 v33, v16
	v_cvt_f32_f16_sdwa v16, v19 dst_sel:DWORD dst_unused:UNUSED_PAD src0_sel:WORD_1
	v_cvt_f16_f32_e32 v49, v17
	s_waitcnt vmcnt(9)
	v_cvt_f32_f16_e32 v17, v6
	v_mul_f32_e32 v48, s7, v18
	v_mul_f32_e32 v57, s7, v16
	v_cvt_f32_f16_e32 v16, v12
	v_mul_f32_e32 v19, s7, v17
	v_cvt_f32_f16_e32 v17, v8
	v_accvgpr_read_b32 v18, a48
	v_cvt_f32_f16_sdwa v6, v6 dst_sel:DWORD dst_unused:UNUSED_PAD src0_sel:WORD_1
	v_fma_mixlo_f16 v58, v18, s6, v19
	v_pk_mul_f32 v[16:17], s[0:1], v[16:17] op_sel_hi:[0,1]
	v_pk_fma_f32 v[16:17], v[42:43], s[6:7], v[16:17] op_sel_hi:[1,0,1]
	v_cvt_f16_f32_e32 v17, v17
	v_cvt_f16_f32_e32 v16, v16
	v_mul_f32_e32 v6, s7, v6
	v_accvgpr_read_b32 v18, a49
	s_waitcnt vmcnt(6)
	v_cvt_f32_f16_e32 v19, v2
	v_cvt_f32_f16_sdwa v2, v2 dst_sel:DWORD dst_unused:UNUSED_PAD src0_sel:WORD_1
	v_pack_b32_f16 v26, v16, v17
	v_accvgpr_read_b32 v16, a32
	v_fma_mixlo_f16 v43, v16, s6, v6
	v_cvt_f32_f16_sdwa v16, v12 dst_sel:DWORD dst_unused:UNUSED_PAD src0_sel:WORD_1
	v_cvt_f32_f16_sdwa v17, v8 dst_sel:DWORD dst_unused:UNUSED_PAD src0_sel:WORD_1
	v_accvgpr_read_b32 v6, a33
	v_mul_f32_e32 v2, s7, v2
	v_fma_mixhi_f16 v43, v6, s6, v2
	v_cvt_f32_f16_e32 v2, v7
	v_pk_mul_f32 v[16:17], s[0:1], v[16:17] op_sel_hi:[0,1]
	v_pk_fma_f32 v[14:15], v[14:15], s[6:7], v[16:17] op_sel_hi:[1,0,1]
	v_accvgpr_read_b32 v6, a44
	v_mul_f32_e32 v2, s7, v2
	v_cvt_f16_f32_e32 v27, v15
	v_fma_mixlo_f16 v15, v6, s6, v2
	v_cvt_f32_f16_e32 v2, v3
	v_accvgpr_read_b32 v6, a45
	v_mov_b32_e32 v59, v15
	v_cvt_f32_f16_e32 v16, v13
	v_mul_f32_e32 v2, s7, v2
	v_fma_mixhi_f16 v59, v6, s6, v2
	v_cvt_f32_f16_sdwa v6, v7 dst_sel:DWORD dst_unused:UNUSED_PAD src0_sel:WORD_1
	v_cvt_f32_f16_sdwa v7, v3 dst_sel:DWORD dst_unused:UNUSED_PAD src0_sel:WORD_1
	;; [unrolled: 1-line block ×4, first 2 shown]
	v_cvt_f32_f16_e32 v17, v9
	v_mul_f32_e32 v63, s7, v6
	v_mul_f32_e32 v65, s7, v7
	v_pk_mul_f32 v[2:3], s[0:1], v[2:3] op_sel_hi:[0,1]
	v_pk_fma_f32 v[2:3], v[4:5], s[6:7], v[2:3] op_sel_hi:[1,0,1]
	v_cvt_f16_f32_e32 v66, v2
	v_cvt_f32_f16_e32 v2, v0
	s_waitcnt vmcnt(5)
	v_cvt_f32_f16_e32 v4, v34
	v_pk_mul_f32 v[16:17], s[0:1], v[16:17] op_sel_hi:[0,1]
	v_pk_fma_f32 v[10:11], v[10:11], s[6:7], v[16:17] op_sel_hi:[1,0,1]
	v_cvt_f16_f32_e32 v67, v3
	v_accvgpr_read_b32 v3, a24
	v_mul_f32_e32 v2, s7, v2
	v_cvt_f16_f32_e32 v60, v10
	v_fma_mixlo_f16 v10, v3, s6, v2
	v_accvgpr_read_b32 v2, a25
	v_mul_f32_e32 v3, s7, v4
	s_waitcnt vmcnt(3)
	v_cvt_f32_f16_e32 v4, v38
	v_fma_mixlo_f16 v6, v2, s6, v3
	s_waitcnt vmcnt(1)
	v_cvt_f32_f16_e32 v3, v40
	v_accvgpr_read_b32 v2, a26
	v_mul_f32_e32 v4, s7, v4
	v_fma_mixlo_f16 v2, v2, s6, v4
	v_accvgpr_read_b32 v4, a27
	v_mul_f32_e32 v3, s7, v3
	v_cvt_f32_f16_sdwa v5, v0 dst_sel:DWORD dst_unused:UNUSED_PAD src0_sel:WORD_1
	v_fma_mixlo_f16 v0, v4, s6, v3
	v_cvt_f32_f16_sdwa v3, v34 dst_sel:DWORD dst_unused:UNUSED_PAD src0_sel:WORD_1
	v_cvt_f32_f16_sdwa v4, v38 dst_sel:DWORD dst_unused:UNUSED_PAD src0_sel:WORD_1
	v_mul_f32_e32 v69, s7, v5
	v_cvt_f32_f16_e32 v5, v35
	v_mul_f32_e32 v38, s7, v3
	v_cvt_f32_f16_sdwa v3, v40 dst_sel:DWORD dst_unused:UNUSED_PAD src0_sel:WORD_1
	v_mul_f32_e32 v40, s7, v4
	v_cvt_f32_f16_e32 v4, v1
	v_cvt_f16_f32_e32 v61, v11
	v_mul_f32_e32 v72, s7, v3
	v_accvgpr_read_b32 v3, a16
	v_mul_f32_e32 v4, s7, v4
	v_fma_mixlo_f16 v11, v3, s6, v4
	v_accvgpr_read_b32 v3, a17
	v_mul_f32_e32 v4, s7, v5
	v_cvt_f32_f16_e32 v5, v39
	v_fma_mixlo_f16 v7, v3, s6, v4
	v_cvt_f32_f16_e32 v4, v41
	v_accvgpr_read_b32 v3, a18
	v_mul_f32_e32 v5, s7, v5
	v_fma_mixlo_f16 v3, v3, s6, v5
	v_accvgpr_read_b32 v5, a19
	v_mul_f32_e32 v4, s7, v4
	v_cvt_f32_f16_sdwa v8, v1 dst_sel:DWORD dst_unused:UNUSED_PAD src0_sel:WORD_1
	v_fma_mixlo_f16 v1, v5, s6, v4
	v_cvt_f32_f16_sdwa v4, v35 dst_sel:DWORD dst_unused:UNUSED_PAD src0_sel:WORD_1
	v_cvt_f32_f16_sdwa v5, v39 dst_sel:DWORD dst_unused:UNUSED_PAD src0_sel:WORD_1
	v_mul_f32_e32 v74, s7, v8
	v_cvt_f32_f16_e32 v8, v28
	v_mul_f32_e32 v39, s7, v4
	v_cvt_f32_f16_sdwa v4, v41 dst_sel:DWORD dst_unused:UNUSED_PAD src0_sel:WORD_1
	v_mul_f32_e32 v41, s7, v5
	v_cvt_f32_f16_e32 v5, v44
	v_cvt_f32_f16_sdwa v9, v44 dst_sel:DWORD dst_unused:UNUSED_PAD src0_sel:WORD_1
	v_mul_f32_e32 v77, s7, v4
	v_accvgpr_read_b32 v4, a8
	v_mul_f32_e32 v5, s7, v5
	v_fma_mixlo_f16 v12, v4, s6, v5
	v_accvgpr_read_b32 v4, a9
	v_mul_f32_e32 v5, s7, v8
	v_cvt_f32_f16_e32 v8, v30
	v_fma_mixlo_f16 v16, v4, s6, v5
	s_waitcnt vmcnt(0)
	v_cvt_f32_f16_e32 v5, v46
	v_accvgpr_read_b32 v4, a10
	v_mul_f32_e32 v8, s7, v8
	v_fma_mixlo_f16 v8, v4, s6, v8
	v_accvgpr_read_b32 v4, a11
	v_mul_f32_e32 v5, s7, v5
	v_fma_mixlo_f16 v4, v4, s6, v5
	v_cvt_f32_f16_sdwa v5, v28 dst_sel:DWORD dst_unused:UNUSED_PAD src0_sel:WORD_1
	v_mul_f32_e32 v78, s7, v9
	v_cvt_f32_f16_sdwa v9, v30 dst_sel:DWORD dst_unused:UNUSED_PAD src0_sel:WORD_1
	v_mul_f32_e32 v19, s7, v19
	v_mul_f32_e32 v80, s7, v5
	v_cvt_f32_f16_sdwa v5, v46 dst_sel:DWORD dst_unused:UNUSED_PAD src0_sel:WORD_1
	v_mul_f32_e32 v46, s7, v9
	v_cvt_f32_f16_e32 v9, v45
	v_cvt_f32_f16_e32 v17, v29
	v_fma_mixlo_f16 v42, v18, s6, v19
	v_cvt_f32_f16_e32 v18, v31
	v_cvt_f32_f16_e32 v19, v47
	v_mul_f32_e32 v83, s7, v5
	v_accvgpr_read_b32 v5, a0
	v_mul_f32_e32 v9, s7, v9
	v_fma_mixlo_f16 v13, v5, s6, v9
	v_accvgpr_read_b32 v5, a1
	v_mul_f32_e32 v9, s7, v17
	v_fma_mixlo_f16 v17, v5, s6, v9
	v_accvgpr_read_b32 v5, a2
	v_mul_f32_e32 v9, s7, v18
	v_fma_mixlo_f16 v9, v5, s6, v9
	v_accvgpr_read_b32 v5, a3
	v_mul_f32_e32 v18, s7, v19
	v_cvt_f32_f16_sdwa v19, v45 dst_sel:DWORD dst_unused:UNUSED_PAD src0_sel:WORD_1
	v_fma_mixlo_f16 v5, v5, s6, v18
	v_cvt_f32_f16_sdwa v18, v29 dst_sel:DWORD dst_unused:UNUSED_PAD src0_sel:WORD_1
	v_accvgpr_read_b32 v34, a21
	v_mul_f32_e32 v84, s7, v19
	v_cvt_f32_f16_sdwa v19, v31 dst_sel:DWORD dst_unused:UNUSED_PAD src0_sel:WORD_1
	v_mul_f32_e32 v86, s7, v18
	v_cvt_f32_f16_sdwa v18, v47 dst_sel:DWORD dst_unused:UNUSED_PAD src0_sel:WORD_1
	v_fma_mixhi_f16 v6, v34, s6, v38
	v_mul_f32_e32 v87, s7, v19
	v_pack_b32_f16 v29, v36, v49
	v_mul_f32_e32 v89, s7, v18
	v_mad_u64_u32 v[18:19], s[0:1], v23, s3, v[20:21]
	v_mov_b32_e32 v19, v25
	s_mov_b32 s0, 0xffff
	v_lshlrev_b64 v[18:19], 1, v[18:19]
	v_bfi_b32 v34, s0, v42, v43
	v_mad_u64_u32 v[22:23], s[0:1], v56, s3, v[22:23]
	v_mov_b32_e32 v20, s15
	v_add_co_u32_e32 v90, vcc, s14, v18
	v_mov_b32_e32 v23, v25
	v_addc_co_u32_e32 v91, vcc, v20, v19, vcc
	v_alignbit_b32 v31, v33, v21, 16
	v_lshrrev_b32_e32 v33, 16, v36
	v_fma_mixhi_f16 v21, v37, s6, v48
	v_lshlrev_b64 v[36:37], 1, v[22:23]
	v_cvt_f16_f32_e32 v14, v14
	v_add_co_u32_e32 v36, vcc, v90, v36
	v_alignbit_b32 v30, v32, v24, 16
	v_pack_b32_f16 v20, v24, v52
	v_addc_co_u32_e32 v37, vcc, v91, v37, vcc
	v_add_u32_e32 v24, s3, v22
	global_store_dwordx2 v[36:37], v[20:21], off
	v_lshlrev_b64 v[20:21], 1, v[24:25]
	v_add_co_u32_e32 v20, vcc, v90, v20
	v_alignbit_b32 v18, v27, v26, 16
	v_pack_b32_f16 v26, v26, v14
	v_fma_mixhi_f16 v15, v62, s6, v63
	v_pack_b32_f16 v14, v58, v43
	v_addc_co_u32_e32 v21, vcc, v91, v21, vcc
	v_add_u32_e32 v24, s3, v24
	global_store_dwordx2 v[20:21], v[14:15], off
	v_lshlrev_b64 v[14:15], 1, v[24:25]
	v_add_co_u32_e32 v14, vcc, v90, v14
	v_fma_mixhi_f16 v11, v73, s6, v74
	v_fma_mixhi_f16 v10, v68, s6, v69
	v_addc_co_u32_e32 v15, vcc, v91, v15, vcc
	v_add_u32_e32 v24, s3, v24
	global_store_dwordx2 v[14:15], v[10:11], off
	v_lshlrev_b64 v[10:11], 1, v[24:25]
	v_accvgpr_read_b32 v44, a4
	v_accvgpr_read_b32 v45, a60
	v_add_co_u32_e32 v10, vcc, v90, v10
	v_fma_mixhi_f16 v13, v45, s6, v84
	v_fma_mixhi_f16 v12, v44, s6, v78
	v_addc_co_u32_e32 v11, vcc, v91, v11, vcc
	v_add_u32_e32 v24, s3, v24
	global_store_dwordx2 v[10:11], v[12:13], off
	v_lshlrev_b64 v[10:11], 1, v[24:25]
	v_add_co_u32_e32 v10, vcc, v90, v10
	v_addc_co_u32_e32 v11, vcc, v91, v11, vcc
	v_add_u32_e32 v24, s3, v24
	v_accvgpr_read_b32 v35, a13
	global_store_dwordx2 v[10:11], v[30:31], off
	v_lshlrev_b64 v[10:11], 1, v[24:25]
	v_fma_mixhi_f16 v7, v35, s6, v39
	v_lshrrev_b32_e32 v35, 16, v59
	v_add_co_u32_e32 v10, vcc, v90, v10
	v_fma_mixhi_f16 v35, v64, s6, v65
	v_addc_co_u32_e32 v11, vcc, v91, v11, vcc
	v_add_u32_e32 v24, s3, v24
	global_store_dwordx2 v[10:11], v[34:35], off
	v_lshlrev_b64 v[10:11], 1, v[24:25]
	v_add_co_u32_e32 v10, vcc, v90, v10
	v_addc_co_u32_e32 v11, vcc, v91, v11, vcc
	v_add_u32_e32 v24, s3, v24
	global_store_dwordx2 v[10:11], v[6:7], off
	v_lshlrev_b64 v[6:7], 1, v[24:25]
	v_accvgpr_read_b32 v85, a61
	v_add_co_u32_e32 v6, vcc, v90, v6
	v_fma_mixhi_f16 v17, v85, s6, v86
	v_fma_mixhi_f16 v16, v79, s6, v80
	v_addc_co_u32_e32 v7, vcc, v91, v7, vcc
	v_add_u32_e32 v24, s3, v24
	v_accvgpr_read_b32 v53, a55
	global_store_dwordx2 v[6:7], v[16:17], off
	v_lshlrev_b64 v[6:7], 1, v[24:25]
	v_fma_mixhi_f16 v51, v53, s6, v54
	v_add_co_u32_e32 v6, vcc, v90, v6
	v_pack_b32_f16 v28, v50, v51
	v_addc_co_u32_e32 v7, vcc, v91, v7, vcc
	v_add_u32_e32 v24, s3, v24
	global_store_dwordx2 v[6:7], v[28:29], off
	v_lshlrev_b64 v[6:7], 1, v[24:25]
	v_add_co_u32_e32 v6, vcc, v90, v6
	v_pack_b32_f16 v27, v60, v66
	v_addc_co_u32_e32 v7, vcc, v91, v7, vcc
	v_add_u32_e32 v24, s3, v24
	global_store_dwordx2 v[6:7], v[26:27], off
	v_lshlrev_b64 v[6:7], 1, v[24:25]
	v_add_co_u32_e32 v6, vcc, v90, v6
	v_fma_mixhi_f16 v3, v75, s6, v41
	v_fma_mixhi_f16 v2, v70, s6, v40
	v_addc_co_u32_e32 v7, vcc, v91, v7, vcc
	v_add_u32_e32 v24, s3, v24
	global_store_dwordx2 v[6:7], v[2:3], off
	v_lshlrev_b64 v[2:3], 1, v[24:25]
	v_accvgpr_read_b32 v81, a6
	v_accvgpr_read_b32 v47, a62
	v_add_co_u32_e32 v2, vcc, v90, v2
	v_fma_mixhi_f16 v9, v47, s6, v87
	v_fma_mixhi_f16 v8, v81, s6, v46
	v_addc_co_u32_e32 v3, vcc, v91, v3, vcc
	v_add_u32_e32 v24, s3, v24
	global_store_dwordx2 v[2:3], v[8:9], off
	v_lshlrev_b64 v[2:3], 1, v[24:25]
	v_accvgpr_read_b32 v55, a31
	v_lshrrev_b32_e32 v32, 16, v50
	v_add_co_u32_e32 v2, vcc, v90, v2
	v_fma_mixhi_f16 v32, v53, s6, v54
	v_fma_mixhi_f16 v33, v55, s6, v57
	v_addc_co_u32_e32 v3, vcc, v91, v3, vcc
	v_add_u32_e32 v24, s3, v24
	global_store_dwordx2 v[2:3], v[32:33], off
	v_lshlrev_b64 v[2:3], 1, v[24:25]
	v_add_co_u32_e32 v2, vcc, v90, v2
	v_pack_b32_f16 v19, v61, v67
	v_addc_co_u32_e32 v3, vcc, v91, v3, vcc
	v_add_u32_e32 v24, s3, v24
	global_store_dwordx2 v[2:3], v[18:19], off
	v_lshlrev_b64 v[2:3], 1, v[24:25]
	v_add_co_u32_e32 v2, vcc, v90, v2
	v_fma_mixhi_f16 v1, v76, s6, v77
	v_fma_mixhi_f16 v0, v71, s6, v72
	v_addc_co_u32_e32 v3, vcc, v91, v3, vcc
	v_add_u32_e32 v24, s3, v24
	global_store_dwordx2 v[2:3], v[0:1], off
	v_lshlrev_b64 v[0:1], 1, v[24:25]
	v_accvgpr_read_b32 v82, a7
	v_accvgpr_read_b32 v88, a63
	v_add_co_u32_e32 v0, vcc, v90, v0
	v_fma_mixhi_f16 v5, v88, s6, v89
	v_fma_mixhi_f16 v4, v82, s6, v83
	v_addc_co_u32_e32 v1, vcc, v91, v1, vcc
	global_store_dwordx2 v[0:1], v[4:5], off
.LBB0_6:
	s_endpgm
	.section	.rodata,"a",@progbits
	.p2align	6, 0x0
	.amdhsa_kernel _Z14gemm_rocwmma_djjjPKDF16_S0_S0_PDF16_jjjjff
		.amdhsa_group_segment_fixed_size 0
		.amdhsa_private_segment_fixed_size 0
		.amdhsa_kernarg_size 72
		.amdhsa_user_sgpr_count 6
		.amdhsa_user_sgpr_private_segment_buffer 1
		.amdhsa_user_sgpr_dispatch_ptr 0
		.amdhsa_user_sgpr_queue_ptr 0
		.amdhsa_user_sgpr_kernarg_segment_ptr 1
		.amdhsa_user_sgpr_dispatch_id 0
		.amdhsa_user_sgpr_flat_scratch_init 0
		.amdhsa_user_sgpr_kernarg_preload_length 0
		.amdhsa_user_sgpr_kernarg_preload_offset 0
		.amdhsa_user_sgpr_private_segment_size 0
		.amdhsa_uses_dynamic_stack 0
		.amdhsa_system_sgpr_private_segment_wavefront_offset 0
		.amdhsa_system_sgpr_workgroup_id_x 1
		.amdhsa_system_sgpr_workgroup_id_y 1
		.amdhsa_system_sgpr_workgroup_id_z 0
		.amdhsa_system_sgpr_workgroup_info 0
		.amdhsa_system_vgpr_workitem_id 1
		.amdhsa_next_free_vgpr 156
		.amdhsa_next_free_sgpr 26
		.amdhsa_accum_offset 92
		.amdhsa_reserve_vcc 1
		.amdhsa_reserve_flat_scratch 0
		.amdhsa_float_round_mode_32 0
		.amdhsa_float_round_mode_16_64 0
		.amdhsa_float_denorm_mode_32 3
		.amdhsa_float_denorm_mode_16_64 3
		.amdhsa_dx10_clamp 1
		.amdhsa_ieee_mode 1
		.amdhsa_fp16_overflow 0
		.amdhsa_tg_split 0
		.amdhsa_exception_fp_ieee_invalid_op 0
		.amdhsa_exception_fp_denorm_src 0
		.amdhsa_exception_fp_ieee_div_zero 0
		.amdhsa_exception_fp_ieee_overflow 0
		.amdhsa_exception_fp_ieee_underflow 0
		.amdhsa_exception_fp_ieee_inexact 0
		.amdhsa_exception_int_div_zero 0
	.end_amdhsa_kernel
	.text
.Lfunc_end0:
	.size	_Z14gemm_rocwmma_djjjPKDF16_S0_S0_PDF16_jjjjff, .Lfunc_end0-_Z14gemm_rocwmma_djjjPKDF16_S0_S0_PDF16_jjjjff
                                        ; -- End function
	.section	.AMDGPU.csdata,"",@progbits
; Kernel info:
; codeLenInByte = 5436
; NumSgprs: 30
; NumVgprs: 92
; NumAgprs: 64
; TotalNumVgprs: 156
; ScratchSize: 0
; MemoryBound: 0
; FloatMode: 240
; IeeeMode: 1
; LDSByteSize: 0 bytes/workgroup (compile time only)
; SGPRBlocks: 3
; VGPRBlocks: 19
; NumSGPRsForWavesPerEU: 30
; NumVGPRsForWavesPerEU: 156
; AccumOffset: 92
; Occupancy: 3
; WaveLimiterHint : 0
; COMPUTE_PGM_RSRC2:SCRATCH_EN: 0
; COMPUTE_PGM_RSRC2:USER_SGPR: 6
; COMPUTE_PGM_RSRC2:TRAP_HANDLER: 0
; COMPUTE_PGM_RSRC2:TGID_X_EN: 1
; COMPUTE_PGM_RSRC2:TGID_Y_EN: 1
; COMPUTE_PGM_RSRC2:TGID_Z_EN: 0
; COMPUTE_PGM_RSRC2:TIDIG_COMP_CNT: 1
; COMPUTE_PGM_RSRC3_GFX90A:ACCUM_OFFSET: 22
; COMPUTE_PGM_RSRC3_GFX90A:TG_SPLIT: 0
	.text
	.p2alignl 6, 3212836864
	.fill 256, 4, 3212836864
	.type	__hip_cuid_531fff4ed96daa3b,@object ; @__hip_cuid_531fff4ed96daa3b
	.section	.bss,"aw",@nobits
	.globl	__hip_cuid_531fff4ed96daa3b
__hip_cuid_531fff4ed96daa3b:
	.byte	0                               ; 0x0
	.size	__hip_cuid_531fff4ed96daa3b, 1

	.ident	"AMD clang version 19.0.0git (https://github.com/RadeonOpenCompute/llvm-project roc-6.4.0 25133 c7fe45cf4b819c5991fe208aaa96edf142730f1d)"
	.section	".note.GNU-stack","",@progbits
	.addrsig
	.addrsig_sym __hip_cuid_531fff4ed96daa3b
	.amdgpu_metadata
---
amdhsa.kernels:
  - .agpr_count:     64
    .args:
      - .offset:         0
        .size:           4
        .value_kind:     by_value
      - .offset:         4
        .size:           4
        .value_kind:     by_value
      - .offset:         8
        .size:           4
        .value_kind:     by_value
      - .address_space:  global
        .offset:         16
        .size:           8
        .value_kind:     global_buffer
      - .address_space:  global
        .offset:         24
        .size:           8
        .value_kind:     global_buffer
      - .address_space:  global
        .offset:         32
        .size:           8
        .value_kind:     global_buffer
      - .address_space:  global
        .offset:         40
        .size:           8
        .value_kind:     global_buffer
      - .offset:         48
        .size:           4
        .value_kind:     by_value
      - .offset:         52
        .size:           4
        .value_kind:     by_value
      - .offset:         56
        .size:           4
        .value_kind:     by_value
      - .offset:         60
        .size:           4
        .value_kind:     by_value
      - .offset:         64
        .size:           4
        .value_kind:     by_value
      - .offset:         68
        .size:           4
        .value_kind:     by_value
    .group_segment_fixed_size: 0
    .kernarg_segment_align: 8
    .kernarg_segment_size: 72
    .language:       OpenCL C
    .language_version:
      - 2
      - 0
    .max_flat_workgroup_size: 256
    .name:           _Z14gemm_rocwmma_djjjPKDF16_S0_S0_PDF16_jjjjff
    .private_segment_fixed_size: 0
    .sgpr_count:     30
    .sgpr_spill_count: 0
    .symbol:         _Z14gemm_rocwmma_djjjPKDF16_S0_S0_PDF16_jjjjff.kd
    .uniform_work_group_size: 1
    .uses_dynamic_stack: false
    .vgpr_count:     156
    .vgpr_spill_count: 0
    .wavefront_size: 64
amdhsa.target:   amdgcn-amd-amdhsa--gfx90a
amdhsa.version:
  - 1
  - 2
...

	.end_amdgpu_metadata
